;; amdgpu-corpus repo=ROCm/rocFFT kind=compiled arch=gfx1030 opt=O3
	.text
	.amdgcn_target "amdgcn-amd-amdhsa--gfx1030"
	.amdhsa_code_object_version 6
	.protected	fft_rtc_back_len680_factors_17_4_10_wgs_204_tpt_68_halfLds_sp_ip_CI_unitstride_sbrr_C2R_dirReg ; -- Begin function fft_rtc_back_len680_factors_17_4_10_wgs_204_tpt_68_halfLds_sp_ip_CI_unitstride_sbrr_C2R_dirReg
	.globl	fft_rtc_back_len680_factors_17_4_10_wgs_204_tpt_68_halfLds_sp_ip_CI_unitstride_sbrr_C2R_dirReg
	.p2align	8
	.type	fft_rtc_back_len680_factors_17_4_10_wgs_204_tpt_68_halfLds_sp_ip_CI_unitstride_sbrr_C2R_dirReg,@function
fft_rtc_back_len680_factors_17_4_10_wgs_204_tpt_68_halfLds_sp_ip_CI_unitstride_sbrr_C2R_dirReg: ; @fft_rtc_back_len680_factors_17_4_10_wgs_204_tpt_68_halfLds_sp_ip_CI_unitstride_sbrr_C2R_dirReg
; %bb.0:
	s_load_dwordx4 s[8:11], s[4:5], 0x0
	v_mul_u32_u24_e32 v1, 0x3c4, v0
	s_clause 0x1
	s_load_dwordx2 s[2:3], s[4:5], 0x50
	s_load_dwordx2 s[12:13], s[4:5], 0x18
	v_mov_b32_e32 v5, 0
	v_mov_b32_e32 v3, 0
	;; [unrolled: 1-line block ×3, first 2 shown]
	v_lshrrev_b32_e32 v1, 16, v1
	v_mad_u64_u32 v[1:2], null, s6, 3, v[1:2]
	v_mov_b32_e32 v2, v5
	v_mov_b32_e32 v10, v2
	;; [unrolled: 1-line block ×3, first 2 shown]
	s_waitcnt lgkmcnt(0)
	v_cmp_lt_u64_e64 s0, s[10:11], 2
	s_and_b32 vcc_lo, exec_lo, s0
	s_cbranch_vccnz .LBB0_8
; %bb.1:
	s_load_dwordx2 s[0:1], s[4:5], 0x10
	v_mov_b32_e32 v3, 0
	v_mov_b32_e32 v8, v2
	s_add_u32 s6, s12, 8
	v_mov_b32_e32 v4, 0
	v_mov_b32_e32 v7, v1
	s_addc_u32 s7, s13, 0
	s_mov_b64 s[16:17], 1
	s_waitcnt lgkmcnt(0)
	s_add_u32 s14, s0, 8
	s_addc_u32 s15, s1, 0
.LBB0_2:                                ; =>This Inner Loop Header: Depth=1
	s_load_dwordx2 s[18:19], s[14:15], 0x0
                                        ; implicit-def: $vgpr9_vgpr10
	s_mov_b32 s0, exec_lo
	s_waitcnt lgkmcnt(0)
	v_or_b32_e32 v6, s19, v8
	v_cmpx_ne_u64_e32 0, v[5:6]
	s_xor_b32 s1, exec_lo, s0
	s_cbranch_execz .LBB0_4
; %bb.3:                                ;   in Loop: Header=BB0_2 Depth=1
	v_cvt_f32_u32_e32 v2, s18
	v_cvt_f32_u32_e32 v6, s19
	s_sub_u32 s0, 0, s18
	s_subb_u32 s20, 0, s19
	v_fmac_f32_e32 v2, 0x4f800000, v6
	v_rcp_f32_e32 v2, v2
	v_mul_f32_e32 v2, 0x5f7ffffc, v2
	v_mul_f32_e32 v6, 0x2f800000, v2
	v_trunc_f32_e32 v6, v6
	v_fmac_f32_e32 v2, 0xcf800000, v6
	v_cvt_u32_f32_e32 v6, v6
	v_cvt_u32_f32_e32 v2, v2
	v_mul_lo_u32 v9, s0, v6
	v_mul_hi_u32 v10, s0, v2
	v_mul_lo_u32 v11, s20, v2
	v_add_nc_u32_e32 v9, v10, v9
	v_mul_lo_u32 v10, s0, v2
	v_add_nc_u32_e32 v9, v9, v11
	v_mul_hi_u32 v11, v2, v10
	v_mul_lo_u32 v12, v2, v9
	v_mul_hi_u32 v13, v2, v9
	v_mul_hi_u32 v14, v6, v10
	v_mul_lo_u32 v10, v6, v10
	v_mul_hi_u32 v15, v6, v9
	v_mul_lo_u32 v9, v6, v9
	v_add_co_u32 v11, vcc_lo, v11, v12
	v_add_co_ci_u32_e32 v12, vcc_lo, 0, v13, vcc_lo
	v_add_co_u32 v10, vcc_lo, v11, v10
	v_add_co_ci_u32_e32 v10, vcc_lo, v12, v14, vcc_lo
	v_add_co_ci_u32_e32 v11, vcc_lo, 0, v15, vcc_lo
	v_add_co_u32 v9, vcc_lo, v10, v9
	v_add_co_ci_u32_e32 v10, vcc_lo, 0, v11, vcc_lo
	v_add_co_u32 v2, vcc_lo, v2, v9
	v_add_co_ci_u32_e32 v6, vcc_lo, v6, v10, vcc_lo
	v_mul_hi_u32 v9, s0, v2
	v_mul_lo_u32 v11, s20, v2
	v_mul_lo_u32 v10, s0, v6
	v_add_nc_u32_e32 v9, v9, v10
	v_mul_lo_u32 v10, s0, v2
	v_add_nc_u32_e32 v9, v9, v11
	v_mul_hi_u32 v11, v2, v10
	v_mul_lo_u32 v12, v2, v9
	v_mul_hi_u32 v13, v2, v9
	v_mul_hi_u32 v14, v6, v10
	v_mul_lo_u32 v10, v6, v10
	v_mul_hi_u32 v15, v6, v9
	v_mul_lo_u32 v9, v6, v9
	v_add_co_u32 v11, vcc_lo, v11, v12
	v_add_co_ci_u32_e32 v12, vcc_lo, 0, v13, vcc_lo
	v_add_co_u32 v10, vcc_lo, v11, v10
	v_add_co_ci_u32_e32 v10, vcc_lo, v12, v14, vcc_lo
	v_add_co_ci_u32_e32 v11, vcc_lo, 0, v15, vcc_lo
	v_add_co_u32 v9, vcc_lo, v10, v9
	v_add_co_ci_u32_e32 v10, vcc_lo, 0, v11, vcc_lo
	v_add_co_u32 v2, vcc_lo, v2, v9
	v_add_co_ci_u32_e32 v6, vcc_lo, v6, v10, vcc_lo
	v_mul_hi_u32 v15, v7, v2
	v_mad_u64_u32 v[11:12], null, v8, v2, 0
	v_mad_u64_u32 v[9:10], null, v7, v6, 0
	v_mad_u64_u32 v[13:14], null, v8, v6, 0
	v_add_co_u32 v2, vcc_lo, v15, v9
	v_add_co_ci_u32_e32 v6, vcc_lo, 0, v10, vcc_lo
	v_add_co_u32 v2, vcc_lo, v2, v11
	v_add_co_ci_u32_e32 v2, vcc_lo, v6, v12, vcc_lo
	v_add_co_ci_u32_e32 v6, vcc_lo, 0, v14, vcc_lo
	v_add_co_u32 v2, vcc_lo, v2, v13
	v_add_co_ci_u32_e32 v6, vcc_lo, 0, v6, vcc_lo
	v_mul_lo_u32 v11, s19, v2
	v_mad_u64_u32 v[9:10], null, s18, v2, 0
	v_mul_lo_u32 v12, s18, v6
	v_sub_co_u32 v9, vcc_lo, v7, v9
	v_add3_u32 v10, v10, v12, v11
	v_sub_nc_u32_e32 v11, v8, v10
	v_subrev_co_ci_u32_e64 v11, s0, s19, v11, vcc_lo
	v_add_co_u32 v12, s0, v2, 2
	v_add_co_ci_u32_e64 v13, s0, 0, v6, s0
	v_sub_co_u32 v14, s0, v9, s18
	v_sub_co_ci_u32_e32 v10, vcc_lo, v8, v10, vcc_lo
	v_subrev_co_ci_u32_e64 v11, s0, 0, v11, s0
	v_cmp_le_u32_e32 vcc_lo, s18, v14
	v_cmp_eq_u32_e64 s0, s19, v10
	v_cndmask_b32_e64 v14, 0, -1, vcc_lo
	v_cmp_le_u32_e32 vcc_lo, s19, v11
	v_cndmask_b32_e64 v15, 0, -1, vcc_lo
	v_cmp_le_u32_e32 vcc_lo, s18, v9
	;; [unrolled: 2-line block ×3, first 2 shown]
	v_cndmask_b32_e64 v16, 0, -1, vcc_lo
	v_cmp_eq_u32_e32 vcc_lo, s19, v11
	v_cndmask_b32_e64 v9, v16, v9, s0
	v_cndmask_b32_e32 v11, v15, v14, vcc_lo
	v_add_co_u32 v14, vcc_lo, v2, 1
	v_add_co_ci_u32_e32 v15, vcc_lo, 0, v6, vcc_lo
	v_cmp_ne_u32_e32 vcc_lo, 0, v11
	v_cndmask_b32_e32 v10, v15, v13, vcc_lo
	v_cndmask_b32_e32 v11, v14, v12, vcc_lo
	v_cmp_ne_u32_e32 vcc_lo, 0, v9
	v_cndmask_b32_e32 v10, v6, v10, vcc_lo
	v_cndmask_b32_e32 v9, v2, v11, vcc_lo
.LBB0_4:                                ;   in Loop: Header=BB0_2 Depth=1
	s_andn2_saveexec_b32 s0, s1
	s_cbranch_execz .LBB0_6
; %bb.5:                                ;   in Loop: Header=BB0_2 Depth=1
	v_cvt_f32_u32_e32 v2, s18
	s_sub_i32 s1, 0, s18
	v_rcp_iflag_f32_e32 v2, v2
	v_mul_f32_e32 v2, 0x4f7ffffe, v2
	v_cvt_u32_f32_e32 v2, v2
	v_mul_lo_u32 v6, s1, v2
	v_mul_hi_u32 v6, v2, v6
	v_add_nc_u32_e32 v2, v2, v6
	v_mul_hi_u32 v2, v7, v2
	v_mul_lo_u32 v6, v2, s18
	v_add_nc_u32_e32 v9, 1, v2
	v_sub_nc_u32_e32 v6, v7, v6
	v_subrev_nc_u32_e32 v10, s18, v6
	v_cmp_le_u32_e32 vcc_lo, s18, v6
	v_cndmask_b32_e32 v6, v6, v10, vcc_lo
	v_cndmask_b32_e32 v2, v2, v9, vcc_lo
	v_mov_b32_e32 v10, v5
	v_cmp_le_u32_e32 vcc_lo, s18, v6
	v_add_nc_u32_e32 v9, 1, v2
	v_cndmask_b32_e32 v9, v2, v9, vcc_lo
.LBB0_6:                                ;   in Loop: Header=BB0_2 Depth=1
	s_or_b32 exec_lo, exec_lo, s0
	s_load_dwordx2 s[0:1], s[6:7], 0x0
	v_mul_lo_u32 v2, v10, s18
	v_mul_lo_u32 v6, v9, s19
	v_mad_u64_u32 v[11:12], null, v9, s18, 0
	s_add_u32 s16, s16, 1
	s_addc_u32 s17, s17, 0
	s_add_u32 s6, s6, 8
	s_addc_u32 s7, s7, 0
	;; [unrolled: 2-line block ×3, first 2 shown]
	v_add3_u32 v2, v12, v6, v2
	v_sub_co_u32 v6, vcc_lo, v7, v11
	v_sub_co_ci_u32_e32 v2, vcc_lo, v8, v2, vcc_lo
	s_waitcnt lgkmcnt(0)
	v_mul_lo_u32 v7, s1, v6
	v_mul_lo_u32 v2, s0, v2
	v_mad_u64_u32 v[3:4], null, s0, v6, v[3:4]
	v_cmp_ge_u64_e64 s0, s[16:17], s[10:11]
	s_and_b32 vcc_lo, exec_lo, s0
	v_add3_u32 v4, v7, v4, v2
	s_cbranch_vccnz .LBB0_8
; %bb.7:                                ;   in Loop: Header=BB0_2 Depth=1
	v_mov_b32_e32 v7, v9
	v_mov_b32_e32 v8, v10
	s_branch .LBB0_2
.LBB0_8:
	s_lshl_b64 s[0:1], s[10:11], 3
	v_mul_hi_u32 v2, 0xaaaaaaab, v1
	s_add_u32 s0, s12, s0
	s_addc_u32 s1, s13, s1
	s_load_dwordx2 s[4:5], s[4:5], 0x20
	s_load_dwordx2 s[0:1], s[0:1], 0x0
	v_mul_hi_u32 v5, 0x3c3c3c4, v0
	v_lshrrev_b32_e32 v2, 1, v2
	v_lshl_add_u32 v6, v2, 1, v2
	v_sub_nc_u32_e32 v1, v1, v6
	s_waitcnt lgkmcnt(0)
	v_cmp_gt_u64_e32 vcc_lo, s[4:5], v[9:10]
	v_mul_lo_u32 v7, s0, v10
	v_mul_lo_u32 v8, s1, v9
	v_mad_u64_u32 v[2:3], null, s0, v9, v[3:4]
	v_mul_u32_u24_e32 v4, 0x44, v5
	v_mul_u32_u24_e32 v1, 0x2a9, v1
	v_sub_nc_u32_e32 v36, v0, v4
	v_add3_u32 v3, v8, v3, v7
	v_lshlrev_b32_e32 v56, 3, v1
	v_lshlrev_b64 v[38:39], 3, v[2:3]
	s_and_saveexec_b32 s1, vcc_lo
	s_cbranch_execz .LBB0_12
; %bb.9:
	v_mov_b32_e32 v37, 0
	v_add_co_u32 v0, s0, s2, v38
	v_add_co_ci_u32_e64 v2, s0, s3, v39, s0
	v_lshlrev_b64 v[3:4], 3, v[36:37]
	s_mov_b32 s4, exec_lo
	v_add_co_u32 v3, s0, v0, v3
	v_add_co_ci_u32_e64 v4, s0, v2, v4, s0
	s_clause 0x3
	global_load_dwordx2 v[5:6], v[3:4], off
	global_load_dwordx2 v[7:8], v[3:4], off offset:544
	global_load_dwordx2 v[9:10], v[3:4], off offset:1088
	;; [unrolled: 1-line block ×3, first 2 shown]
	v_add_co_u32 v13, s0, 0x800, v3
	v_add_co_ci_u32_e64 v14, s0, 0, v4, s0
	v_add_co_u32 v3, s0, 0x1000, v3
	v_add_co_ci_u32_e64 v4, s0, 0, v4, s0
	s_clause 0x5
	global_load_dwordx2 v[15:16], v[13:14], off offset:128
	global_load_dwordx2 v[17:18], v[13:14], off offset:672
	global_load_dwordx2 v[19:20], v[13:14], off offset:1216
	global_load_dwordx2 v[13:14], v[13:14], off offset:1760
	global_load_dwordx2 v[21:22], v[3:4], off offset:256
	global_load_dwordx2 v[23:24], v[3:4], off offset:800
	v_lshlrev_b32_e32 v3, 3, v36
	v_add3_u32 v3, 0, v56, v3
	v_add_nc_u32_e32 v4, 0x800, v3
	v_add_nc_u32_e32 v25, 0x1000, v3
	s_waitcnt vmcnt(8)
	ds_write2_b64 v3, v[5:6], v[7:8] offset1:68
	s_waitcnt vmcnt(6)
	ds_write2_b64 v3, v[9:10], v[11:12] offset0:136 offset1:204
	s_waitcnt vmcnt(4)
	ds_write2_b64 v4, v[15:16], v[17:18] offset0:16 offset1:84
	;; [unrolled: 2-line block ×4, first 2 shown]
	v_cmpx_eq_u32_e32 0x43, v36
	s_cbranch_execz .LBB0_11
; %bb.10:
	v_add_co_u32 v4, s0, 0x1000, v0
	v_add_co_ci_u32_e64 v5, s0, 0, v2, s0
	v_mov_b32_e32 v36, 0x43
	global_load_dwordx2 v[4:5], v[4:5], off offset:1344
	s_waitcnt vmcnt(0)
	ds_write_b64 v3, v[4:5] offset:4904
.LBB0_11:
	s_or_b32 exec_lo, exec_lo, s4
.LBB0_12:
	s_or_b32 exec_lo, exec_lo, s1
	v_lshl_add_u32 v54, v1, 3, 0
	v_lshlrev_b32_e32 v5, 3, v36
	s_waitcnt lgkmcnt(0)
	s_barrier
	buffer_gl0_inv
	s_add_u32 s1, s8, 0x14b8
	v_add_nc_u32_e32 v55, v54, v5
	v_sub_nc_u32_e32 v4, v54, v5
	s_addc_u32 s4, s9, 0
	s_mov_b32 s5, exec_lo
	ds_read_b32 v6, v55
	ds_read_b32 v7, v4 offset:5440
                                        ; implicit-def: $vgpr2_vgpr3
	s_waitcnt lgkmcnt(0)
	v_add_f32_e32 v0, v7, v6
	v_sub_f32_e32 v1, v6, v7
	v_cmpx_ne_u32_e32 0, v36
	s_xor_b32 s5, exec_lo, s5
	s_cbranch_execz .LBB0_14
; %bb.13:
	v_mov_b32_e32 v37, 0
	v_add_f32_e32 v8, v7, v6
	v_sub_f32_e32 v9, v6, v7
	v_lshlrev_b64 v[0:1], 3, v[36:37]
	v_add_co_u32 v0, s0, s1, v0
	v_add_co_ci_u32_e64 v1, s0, s4, v1, s0
	global_load_dwordx2 v[2:3], v[0:1], off
	ds_read_b32 v0, v4 offset:5444
	ds_read_b32 v1, v55 offset:4
	s_waitcnt lgkmcnt(0)
	v_add_f32_e32 v10, v0, v1
	v_sub_f32_e32 v0, v1, v0
	s_waitcnt vmcnt(0)
	v_fma_f32 v6, -v9, v3, v8
	v_fma_f32 v7, v10, v3, -v0
	v_fma_f32 v11, v9, v3, v8
	v_fma_f32 v1, v10, v3, v0
	v_fmac_f32_e32 v6, v2, v10
	v_fmac_f32_e32 v7, v9, v2
	v_fma_f32 v0, -v2, v10, v11
	v_fmac_f32_e32 v1, v9, v2
	v_mov_b32_e32 v2, v36
	v_mov_b32_e32 v3, v37
	ds_write_b64 v4, v[6:7] offset:5440
.LBB0_14:
	s_andn2_saveexec_b32 s0, s5
	s_cbranch_execz .LBB0_16
; %bb.15:
	ds_read_b64 v[2:3], v54 offset:2720
	s_waitcnt lgkmcnt(0)
	v_add_f32_e32 v6, v2, v2
	v_mul_f32_e32 v7, -2.0, v3
	v_mov_b32_e32 v2, 0
	v_mov_b32_e32 v3, 0
	ds_write_b64 v54, v[6:7] offset:2720
.LBB0_16:
	s_or_b32 exec_lo, exec_lo, s0
	v_lshlrev_b64 v[2:3], 3, v[2:3]
	v_add3_u32 v37, 0, v5, v56
	v_add_nc_u32_e32 v57, 0x800, v37
	v_add_co_u32 v2, s0, s1, v2
	v_add_co_ci_u32_e64 v3, s0, s4, v3, s0
	s_mov_b32 s1, exec_lo
	s_clause 0x2
	global_load_dwordx2 v[6:7], v[2:3], off offset:544
	global_load_dwordx2 v[8:9], v[2:3], off offset:1088
	;; [unrolled: 1-line block ×3, first 2 shown]
	v_add_co_u32 v2, s0, 0x800, v2
	v_add_co_ci_u32_e64 v3, s0, 0, v3, s0
	ds_write_b64 v55, v[0:1]
	global_load_dwordx2 v[2:3], v[2:3], off offset:128
	ds_read_b64 v[0:1], v55 offset:544
	ds_read_b64 v[12:13], v4 offset:4896
	s_waitcnt lgkmcnt(0)
	v_add_f32_e32 v14, v0, v12
	v_add_f32_e32 v15, v13, v1
	v_sub_f32_e32 v16, v0, v12
	v_sub_f32_e32 v0, v1, v13
	s_waitcnt vmcnt(3)
	v_fma_f32 v17, v16, v7, v14
	v_fma_f32 v1, v15, v7, v0
	v_fma_f32 v12, -v16, v7, v14
	v_fma_f32 v13, v15, v7, -v0
	v_fma_f32 v0, -v6, v15, v17
	v_fmac_f32_e32 v1, v16, v6
	v_fmac_f32_e32 v12, v6, v15
	v_fmac_f32_e32 v13, v16, v6
	ds_write_b64 v55, v[0:1] offset:544
	ds_write_b64 v4, v[12:13] offset:4896
	ds_read_b64 v[0:1], v55 offset:1088
	ds_read_b64 v[6:7], v4 offset:4352
	s_waitcnt lgkmcnt(0)
	v_add_f32_e32 v12, v0, v6
	v_add_f32_e32 v13, v7, v1
	v_sub_f32_e32 v14, v0, v6
	v_sub_f32_e32 v0, v1, v7
	s_waitcnt vmcnt(2)
	v_fma_f32 v15, v14, v9, v12
	v_fma_f32 v1, v13, v9, v0
	v_fma_f32 v6, -v14, v9, v12
	v_fma_f32 v7, v13, v9, -v0
	v_fma_f32 v0, -v8, v13, v15
	v_fmac_f32_e32 v1, v14, v8
	v_fmac_f32_e32 v6, v8, v13
	v_fmac_f32_e32 v7, v14, v8
	ds_write_b64 v55, v[0:1] offset:1088
	ds_write_b64 v4, v[6:7] offset:4352
	;; [unrolled: 18-line block ×3, first 2 shown]
	ds_read_b64 v[0:1], v55 offset:2176
	ds_read_b64 v[6:7], v4 offset:3264
	s_waitcnt lgkmcnt(0)
	v_add_f32_e32 v8, v0, v6
	v_add_f32_e32 v9, v7, v1
	v_sub_f32_e32 v10, v0, v6
	v_sub_f32_e32 v0, v1, v7
	s_waitcnt vmcnt(0)
	v_fma_f32 v11, v10, v3, v8
	v_fma_f32 v1, v9, v3, v0
	v_fma_f32 v6, -v10, v3, v8
	v_fma_f32 v7, v9, v3, -v0
	v_fma_f32 v0, -v2, v9, v11
	v_fmac_f32_e32 v1, v10, v2
	v_fmac_f32_e32 v6, v2, v9
	;; [unrolled: 1-line block ×3, first 2 shown]
	v_add_nc_u32_e32 v2, 0x1000, v37
	ds_write_b64 v55, v[0:1] offset:2176
	ds_write_b64 v4, v[6:7] offset:3264
	s_waitcnt lgkmcnt(0)
	s_barrier
	buffer_gl0_inv
	s_barrier
	buffer_gl0_inv
	ds_read2_b64 v[24:27], v37 offset0:40 offset1:80
	ds_read2_b64 v[4:7], v2 offset0:88 offset1:128
	;; [unrolled: 1-line block ×6, first 2 shown]
	ds_read_b64 v[40:41], v55
	ds_read2_b64 v[32:35], v57 offset0:24 offset1:64
	ds_read2_b64 v[28:31], v57 offset0:104 offset1:144
	s_waitcnt lgkmcnt(0)
	s_barrier
	buffer_gl0_inv
	v_sub_f32_e32 v81, v25, v7
	v_add_f32_e32 v66, v6, v24
	v_add_f32_e32 v88, v7, v25
	v_sub_f32_e32 v79, v27, v5
	v_sub_f32_e32 v71, v24, v6
	v_mul_f32_e32 v91, 0xbf4c4adb, v81
	v_add_f32_e32 v64, v4, v26
	v_add_f32_e32 v87, v5, v27
	v_mul_f32_e32 v97, 0xbf1a4643, v88
	v_mul_f32_e32 v47, 0x3f763a35, v79
	;; [unrolled: 1-line block ×3, first 2 shown]
	v_fma_f32 v122, 0xbf1a4643, v66, -v91
	v_sub_f32_e32 v68, v26, v4
	v_mul_f32_e32 v96, 0xbe8c1d8e, v87
	v_mul_f32_e32 v112, 0x3ee437d1, v87
	;; [unrolled: 1-line block ×3, first 2 shown]
	v_fmamk_f32 v123, v71, 0xbf4c4adb, v97
	v_fma_f32 v124, 0xbe8c1d8e, v64, -v47
	v_add_f32_e32 v122, v40, v122
	v_fmamk_f32 v140, v71, 0xbf06c442, v113
	v_mul_f32_e32 v1, 0x3eb8f4ab, v79
	v_mul_f32_e32 v2, 0xbf7ba420, v88
	v_fmamk_f32 v125, v68, 0x3f763a35, v96
	v_fmamk_f32 v141, v68, 0x3f65296c, v112
	v_add_f32_e32 v123, v41, v123
	v_add_f32_e32 v122, v124, v122
	v_fmamk_f32 v124, v66, 0xbf7ba420, v0
	v_add_f32_e32 v140, v41, v140
	v_add_f32_e32 v85, v11, v21
	v_mul_f32_e32 v109, 0xbf06c442, v81
	v_mul_f32_e32 v3, 0x3f6eb680, v87
	v_add_f32_e32 v123, v125, v123
	v_fmamk_f32 v125, v64, 0x3f6eb680, v1
	v_add_f32_e32 v124, v40, v124
	v_add_f32_e32 v140, v141, v140
	v_fmamk_f32 v141, v71, 0x3e3c28d5, v2
	v_sub_f32_e32 v67, v20, v10
	v_sub_f32_e32 v78, v21, v11
	v_add_f32_e32 v83, v9, v23
	v_mul_f32_e32 v95, 0x3f6eb680, v85
	v_mul_f32_e32 v103, 0x3f65296c, v79
	;; [unrolled: 1-line block ×3, first 2 shown]
	v_fma_f32 v138, 0xbf59a7d5, v66, -v109
	v_fma_f32 v0, 0xbf7ba420, v66, -v0
	v_add_f32_e32 v124, v125, v124
	v_fmamk_f32 v125, v68, 0xbeb8f4ab, v3
	v_fmac_f32_e32 v2, 0xbe3c28d5, v71
	v_add_f32_e32 v141, v41, v141
	v_add_f32_e32 v62, v10, v20
	v_sub_f32_e32 v65, v22, v8
	v_sub_f32_e32 v77, v23, v9
	v_mul_f32_e32 v53, 0xbeb8f4ab, v78
	v_mul_f32_e32 v94, 0xbf59a7d5, v83
	;; [unrolled: 1-line block ×6, first 2 shown]
	v_fmamk_f32 v127, v67, 0xbeb8f4ab, v95
	v_fma_f32 v139, 0x3ee437d1, v64, -v103
	v_add_f32_e32 v138, v40, v138
	v_fma_f32 v1, 0x3f6eb680, v64, -v1
	v_add_f32_e32 v0, v40, v0
	v_fmac_f32_e32 v3, 0x3eb8f4ab, v68
	v_add_f32_e32 v2, v41, v2
	v_add_f32_e32 v125, v125, v141
	v_fmamk_f32 v141, v67, 0xbf7ee86f, v111
	v_add_f32_e32 v60, v8, v22
	v_sub_f32_e32 v75, v17, v15
	v_add_f32_e32 v82, v15, v17
	v_mul_f32_e32 v46, 0xbf06c442, v77
	v_mul_f32_e32 v100, 0x3f4c4adb, v77
	;; [unrolled: 1-line block ×4, first 2 shown]
	v_fma_f32 v126, 0x3f6eb680, v62, -v53
	v_fmamk_f32 v129, v65, 0xbf06c442, v94
	v_add_f32_e32 v138, v139, v138
	v_fma_f32 v139, 0x3dbcf732, v62, -v104
	v_add_f32_e32 v0, v1, v0
	v_add_f32_e32 v2, v3, v2
	v_fmamk_f32 v3, v65, 0x3f4c4adb, v110
	v_add_f32_e32 v123, v127, v123
	v_fmamk_f32 v127, v62, 0xbf59a7d5, v42
	;; [unrolled: 2-line block ×3, first 2 shown]
	v_fma_f32 v42, 0xbf59a7d5, v62, -v42
	v_fmac_f32_e32 v43, 0xbf06c442, v67
	v_add_f32_e32 v59, v14, v16
	v_sub_f32_e32 v63, v16, v14
	v_sub_f32_e32 v74, v19, v13
	v_add_f32_e32 v80, v13, v19
	v_mul_f32_e32 v51, 0x3f7ee86f, v75
	v_mul_f32_e32 v93, 0x3dbcf732, v82
	;; [unrolled: 1-line block ×6, first 2 shown]
	v_fma_f32 v128, 0xbf59a7d5, v60, -v46
	v_fma_f32 v1, 0xbf1a4643, v60, -v100
	v_add_f32_e32 v122, v126, v122
	v_add_f32_e32 v138, v139, v138
	;; [unrolled: 1-line block ×7, first 2 shown]
	v_fmamk_f32 v129, v60, 0x3f3d2fb0, v44
	v_add_f32_e32 v3, v3, v140
	v_fmamk_f32 v140, v65, 0xbf2c7751, v45
	v_fma_f32 v44, 0x3f3d2fb0, v60, -v44
	v_fmac_f32_e32 v45, 0x3f2c7751, v65
	v_add_f32_e32 v58, v12, v18
	v_sub_f32_e32 v61, v18, v12
	v_sub_f32_e32 v76, v33, v31
	v_add_f32_e32 v86, v31, v33
	v_mul_f32_e32 v49, 0xbf2c7751, v74
	v_mul_f32_e32 v92, 0x3f3d2fb0, v80
	;; [unrolled: 1-line block ×6, first 2 shown]
	v_fma_f32 v130, 0x3dbcf732, v59, -v51
	v_fmamk_f32 v131, v63, 0x3f7ee86f, v93
	v_fma_f32 v126, 0x3f6eb680, v59, -v101
	v_fmamk_f32 v139, v63, 0xbeb8f4ab, v105
	v_add_f32_e32 v122, v128, v122
	v_add_f32_e32 v1, v1, v138
	;; [unrolled: 1-line block ×3, first 2 shown]
	v_fmamk_f32 v129, v59, 0xbf1a4643, v114
	v_add_f32_e32 v125, v140, v125
	v_fmamk_f32 v140, v63, 0x3f4c4adb, v115
	v_add_f32_e32 v0, v44, v0
	v_add_f32_e32 v2, v45, v2
	v_fma_f32 v114, 0xbf1a4643, v59, -v114
	v_fmac_f32_e32 v115, 0xbf4c4adb, v63
	v_add_f32_e32 v69, v30, v32
	v_sub_f32_e32 v70, v32, v30
	v_sub_f32_e32 v84, v35, v29
	v_add_f32_e32 v89, v29, v35
	v_mul_f32_e32 v50, 0xbe3c28d5, v76
	v_mul_f32_e32 v90, 0xbf7ba420, v86
	;; [unrolled: 1-line block ×6, first 2 shown]
	v_fma_f32 v132, 0x3f3d2fb0, v58, -v49
	v_fmamk_f32 v133, v61, 0xbf2c7751, v92
	v_fma_f32 v127, 0xbf7ba420, v58, -v102
	v_fmamk_f32 v141, v61, 0xbe3c28d5, v106
	v_fmamk_f32 v44, v58, 0x3ee437d1, v116
	;; [unrolled: 1-line block ×3, first 2 shown]
	v_add_f32_e32 v122, v130, v122
	v_add_f32_e32 v123, v131, v123
	;; [unrolled: 1-line block ×4, first 2 shown]
	v_fma_f32 v116, 0x3ee437d1, v58, -v116
	v_fmac_f32_e32 v117, 0x3f65296c, v61
	v_add_f32_e32 v124, v129, v124
	v_add_f32_e32 v125, v140, v125
	;; [unrolled: 1-line block ×5, first 2 shown]
	v_sub_f32_e32 v73, v34, v28
	v_mul_f32_e32 v48, 0x3f65296c, v84
	v_mul_f32_e32 v52, 0x3ee437d1, v89
	;; [unrolled: 1-line block ×6, first 2 shown]
	v_fma_f32 v134, 0xbf7ba420, v69, -v50
	v_fmamk_f32 v135, v70, 0xbe3c28d5, v90
	v_fma_f32 v42, 0x3f3d2fb0, v69, -v99
	v_fmamk_f32 v43, v70, 0x3f2c7751, v107
	v_fmamk_f32 v130, v69, 0xbe8c1d8e, v118
	;; [unrolled: 1-line block ×3, first 2 shown]
	v_fma_f32 v118, 0xbe8c1d8e, v69, -v118
	v_fmac_f32_e32 v119, 0xbf763a35, v70
	v_add_f32_e32 v114, v132, v122
	v_add_f32_e32 v115, v133, v123
	;; [unrolled: 1-line block ×8, first 2 shown]
	v_fma_f32 v136, 0x3ee437d1, v72, -v48
	v_fmamk_f32 v137, v73, 0x3f65296c, v52
	v_fma_f32 v128, 0xbe8c1d8e, v72, -v98
	v_fmamk_f32 v138, v73, 0xbf763a35, v108
	v_fmamk_f32 v126, v72, 0x3dbcf732, v120
	;; [unrolled: 1-line block ×3, first 2 shown]
	v_fma_f32 v120, 0x3dbcf732, v72, -v120
	v_fmac_f32_e32 v121, 0x3f7ee86f, v73
	v_add_f32_e32 v114, v134, v114
	v_add_f32_e32 v115, v135, v115
	;; [unrolled: 1-line block ×16, first 2 shown]
	v_cmpx_gt_u32_e32 40, v36
	s_cbranch_execz .LBB0_18
; %bb.17:
	v_mul_f32_e32 v115, 0xbf4c4adb, v71
	v_mul_f32_e32 v117, 0xbf06c442, v71
	;; [unrolled: 1-line block ×5, first 2 shown]
	v_sub_f32_e32 v97, v97, v115
	v_mul_f32_e32 v123, 0xbeb8f4ab, v67
	v_sub_f32_e32 v113, v113, v117
	v_sub_f32_e32 v96, v96, v119
	v_mul_f32_e32 v114, 0xbf1a4643, v66
	v_add_f32_e32 v97, v41, v97
	v_mul_f32_e32 v120, 0x3ee437d1, v64
	v_mul_f32_e32 v125, 0xbf7ee86f, v67
	;; [unrolled: 1-line block ×3, first 2 shown]
	v_add_f32_e32 v113, v41, v113
	v_sub_f32_e32 v112, v112, v121
	v_add_f32_e32 v109, v116, v109
	v_add_f32_e32 v96, v96, v97
	v_sub_f32_e32 v95, v95, v123
	v_mul_f32_e32 v118, 0xbe8c1d8e, v64
	v_mul_f32_e32 v124, 0x3dbcf732, v62
	;; [unrolled: 1-line block ×5, first 2 shown]
	v_add_f32_e32 v112, v112, v113
	v_sub_f32_e32 v111, v111, v125
	v_add_f32_e32 v109, v40, v109
	v_add_f32_e32 v103, v120, v103
	;; [unrolled: 1-line block ×3, first 2 shown]
	v_sub_f32_e32 v94, v94, v127
	v_add_f32_e32 v91, v114, v91
	v_mul_f32_e32 v122, 0x3f6eb680, v62
	v_mul_f32_e32 v128, 0xbf1a4643, v60
	;; [unrolled: 1-line block ×4, first 2 shown]
	v_add_f32_e32 v111, v111, v112
	v_sub_f32_e32 v110, v110, v129
	v_add_f32_e32 v103, v103, v109
	v_add_f32_e32 v104, v124, v104
	;; [unrolled: 1-line block ×3, first 2 shown]
	v_sub_f32_e32 v93, v93, v131
	v_add_f32_e32 v95, v116, v99
	v_add_f32_e32 v91, v40, v91
	;; [unrolled: 1-line block ×3, first 2 shown]
	v_mul_f32_e32 v126, 0xbf59a7d5, v60
	v_mul_f32_e32 v132, 0x3f6eb680, v59
	;; [unrolled: 1-line block ×4, first 2 shown]
	v_add_f32_e32 v110, v110, v111
	v_sub_f32_e32 v105, v105, v133
	v_add_f32_e32 v103, v104, v103
	v_add_f32_e32 v100, v128, v100
	;; [unrolled: 1-line block ×3, first 2 shown]
	v_sub_f32_e32 v92, v92, v134
	v_add_f32_e32 v91, v99, v91
	v_add_f32_e32 v53, v122, v53
	v_mul_f32_e32 v130, 0x3dbcf732, v59
	v_mul_f32_e32 v135, 0xbf7ba420, v58
	v_add_f32_e32 v104, v105, v110
	v_sub_f32_e32 v105, v106, v136
	v_add_f32_e32 v100, v100, v103
	v_add_f32_e32 v101, v132, v101
	;; [unrolled: 1-line block ×3, first 2 shown]
	v_sub_f32_e32 v90, v90, v137
	v_mul_f32_e32 v106, 0xbe8c1d8e, v88
	v_add_f32_e32 v53, v53, v91
	v_add_f32_e32 v91, v126, v46
	v_mul_f32_e32 v117, 0x3f3d2fb0, v58
	v_mul_f32_e32 v120, 0x3f65296c, v73
	v_add_f32_e32 v100, v101, v100
	v_add_f32_e32 v101, v135, v102
	;; [unrolled: 1-line block ×3, first 2 shown]
	v_fmamk_f32 v92, v71, 0x3f763a35, v106
	v_mul_f32_e32 v102, 0xbf59a7d5, v87
	v_add_f32_e32 v53, v91, v53
	v_add_f32_e32 v51, v130, v51
	v_mul_f32_e32 v121, 0xbf7ba420, v69
	v_mul_f32_e32 v113, 0x3f2c7751, v70
	v_add_f32_e32 v97, v105, v104
	v_sub_f32_e32 v52, v52, v120
	v_add_f32_e32 v91, v41, v92
	v_fmamk_f32 v92, v68, 0xbf06c442, v102
	v_mul_f32_e32 v104, 0x3f3d2fb0, v85
	v_add_f32_e32 v51, v51, v53
	v_add_f32_e32 v53, v117, v49
	v_mul_f32_e32 v112, 0xbe8c1d8e, v72
	v_sub_f32_e32 v103, v107, v113
	v_add_f32_e32 v100, v101, v100
	v_add_f32_e32 v49, v52, v90
	;; [unrolled: 1-line block ×3, first 2 shown]
	v_fmamk_f32 v90, v67, 0xbf2c7751, v104
	v_mul_f32_e32 v105, 0x3ee437d1, v83
	v_add_f32_e32 v51, v53, v51
	v_add_f32_e32 v50, v121, v50
	v_mul_f32_e32 v101, 0xbf763a35, v81
	v_add_f32_e32 v96, v103, v97
	v_add_f32_e32 v94, v95, v100
	;; [unrolled: 1-line block ×4, first 2 shown]
	v_fmamk_f32 v53, v65, 0x3f65296c, v105
	v_mul_f32_e32 v115, 0xbf7ba420, v82
	v_add_f32_e32 v50, v50, v51
	v_fmamk_f32 v51, v66, 0xbe8c1d8e, v101
	v_mul_f32_e32 v103, 0x3f06c442, v79
	v_add_f32_e32 v46, v95, v94
	v_add_f32_e32 v52, v53, v52
	v_fmamk_f32 v53, v63, 0x3e3c28d5, v115
	v_mul_f32_e32 v107, 0x3dbcf732, v80
	v_add_f32_e32 v51, v40, v51
	v_fmamk_f32 v90, v64, 0xbf59a7d5, v103
	v_mul_f32_e32 v94, 0x3f2c7751, v78
	v_mul_f32_e32 v125, 0x3ee437d1, v72
	v_mul_f32_e32 v109, 0xbf763a35, v73
	v_add_f32_e32 v52, v53, v52
	v_fmamk_f32 v53, v61, 0xbf7ee86f, v107
	v_mul_f32_e32 v95, 0x3f6eb680, v86
	v_add_f32_e32 v51, v90, v51
	v_fmamk_f32 v91, v62, 0x3f3d2fb0, v94
	v_mul_f32_e32 v90, 0xbf65296c, v77
	v_sub_f32_e32 v97, v108, v109
	v_add_f32_e32 v48, v125, v48
	v_add_f32_e32 v52, v53, v52
	v_fmamk_f32 v53, v70, 0x3eb8f4ab, v95
	v_add_f32_e32 v51, v91, v51
	v_fmamk_f32 v92, v60, 0x3ee437d1, v90
	v_mul_f32_e32 v91, 0xbe3c28d5, v75
	v_mul_f32_e32 v116, 0x3dbcf732, v88
	v_add_f32_e32 v47, v97, v96
	v_add_f32_e32 v48, v48, v50
	;; [unrolled: 1-line block ×4, first 2 shown]
	v_fmamk_f32 v52, v59, 0xbf7ba420, v91
	v_mul_f32_e32 v92, 0x3f7ee86f, v74
	v_fmamk_f32 v53, v71, 0x3f7ee86f, v116
	v_mul_f32_e32 v96, 0xbf7ba420, v87
	v_mul_f32_e32 v117, 0xbf1a4643, v89
	v_add_f32_e32 v51, v52, v51
	v_fmamk_f32 v52, v58, 0x3dbcf732, v92
	v_mul_f32_e32 v93, 0xbeb8f4ab, v76
	v_add_f32_e32 v53, v41, v53
	v_fmamk_f32 v98, v68, 0x3e3c28d5, v96
	v_mul_f32_e32 v97, 0xbe8c1d8e, v85
	v_fmamk_f32 v99, v73, 0x3f4c4adb, v117
	v_add_f32_e32 v52, v52, v51
	v_fmamk_f32 v108, v69, 0x3f6eb680, v93
	v_add_f32_e32 v53, v98, v53
	v_fmamk_f32 v98, v67, 0xbf763a35, v97
	v_mul_f32_e32 v100, 0x3f6eb680, v83
	v_mul_f32_e32 v119, 0xbf7ee86f, v81
	v_add_f32_e32 v51, v99, v50
	v_add_f32_e32 v50, v108, v52
	;; [unrolled: 1-line block ×3, first 2 shown]
	v_fmamk_f32 v53, v65, 0xbeb8f4ab, v100
	v_mul_f32_e32 v113, 0x3ee437d1, v82
	v_fmamk_f32 v98, v66, 0x3dbcf732, v119
	v_mul_f32_e32 v121, 0xbe3c28d5, v79
	v_mul_f32_e32 v114, 0xbf59a7d5, v80
	v_add_f32_e32 v52, v53, v52
	v_fmamk_f32 v53, v63, 0x3f65296c, v113
	v_add_f32_e32 v98, v40, v98
	v_fmamk_f32 v99, v64, 0xbf7ba420, v121
	v_mul_f32_e32 v122, 0x3f763a35, v78
	v_mul_f32_e32 v108, 0xbf4c4adb, v84
	v_add_f32_e32 v52, v53, v52
	v_fmamk_f32 v53, v61, 0x3f06c442, v114
	v_mul_f32_e32 v109, 0xbf1a4643, v86
	v_add_f32_e32 v98, v99, v98
	v_fmamk_f32 v99, v62, 0xbe8c1d8e, v122
	v_mul_f32_e32 v125, 0x3eb8f4ab, v77
	v_fmamk_f32 v110, v72, 0xbf1a4643, v108
	v_add_f32_e32 v52, v53, v52
	v_fmamk_f32 v53, v70, 0xbf4c4adb, v109
	v_add_f32_e32 v98, v99, v98
	v_fmamk_f32 v99, v60, 0x3f6eb680, v125
	v_mul_f32_e32 v126, 0xbf65296c, v75
	v_mul_f32_e32 v118, 0x3ee437d1, v88
	v_add_f32_e32 v50, v110, v50
	v_add_f32_e32 v52, v53, v52
	;; [unrolled: 1-line block ×3, first 2 shown]
	v_fmamk_f32 v98, v59, 0x3ee437d1, v126
	v_mul_f32_e32 v129, 0xbf06c442, v74
	v_fmamk_f32 v99, v71, 0x3f65296c, v118
	v_mul_f32_e32 v110, 0xbf1a4643, v87
	v_mul_f32_e32 v120, 0x3f3d2fb0, v89
	v_add_f32_e32 v53, v98, v53
	v_fmamk_f32 v111, v58, 0xbf59a7d5, v129
	v_mul_f32_e32 v127, 0x3f4c4adb, v76
	v_add_f32_e32 v99, v41, v99
	v_fmamk_f32 v112, v68, 0x3f4c4adb, v110
	v_mul_f32_e32 v98, 0xbf7ba420, v85
	v_fmamk_f32 v123, v73, 0xbf2c7751, v120
	v_add_f32_e32 v111, v111, v53
	v_fmamk_f32 v124, v69, 0xbf1a4643, v127
	v_add_f32_e32 v112, v112, v99
	v_fmamk_f32 v130, v67, 0xbe3c28d5, v98
	v_mul_f32_e32 v99, 0xbe8c1d8e, v83
	v_add_f32_e32 v53, v123, v52
	v_add_f32_e32 v52, v124, v111
	v_mul_f32_e32 v111, 0x3f3d2fb0, v82
	v_add_f32_e32 v112, v130, v112
	v_fmamk_f32 v123, v65, 0xbf763a35, v99
	v_add_f32_e32 v25, v41, v25
	v_add_f32_e32 v24, v40, v24
	v_mul_f32_e32 v128, 0xbf65296c, v81
	v_fmamk_f32 v133, v63, 0xbf2c7751, v111
	v_add_f32_e32 v132, v123, v112
	v_mul_f32_e32 v112, 0x3f6eb680, v80
	v_add_f32_e32 v25, v25, v27
	v_add_f32_e32 v24, v24, v26
	v_mul_f32_e32 v131, 0x3f2c7751, v84
	v_fmamk_f32 v124, v66, 0x3ee437d1, v128
	v_mul_f32_e32 v130, 0xbf4c4adb, v79
	v_add_f32_e32 v132, v133, v132
	v_fmamk_f32 v133, v61, 0x3eb8f4ab, v112
	v_add_f32_e32 v21, v25, v21
	v_add_f32_e32 v20, v24, v20
	;; [unrolled: 1-line block ×3, first 2 shown]
	v_fmamk_f32 v134, v64, 0xbf1a4643, v130
	v_mul_f32_e32 v123, 0x3e3c28d5, v78
	v_fmamk_f32 v135, v72, 0x3f3d2fb0, v131
	v_add_f32_e32 v132, v133, v132
	v_mul_f32_e32 v133, 0x3f3d2fb0, v88
	v_add_f32_e32 v21, v21, v23
	v_add_f32_e32 v20, v20, v22
	v_add_f32_e32 v134, v134, v124
	v_fmamk_f32 v136, v62, 0xbf7ba420, v123
	v_mul_f32_e32 v124, 0x3f763a35, v77
	v_add_f32_e32 v52, v135, v52
	v_fmamk_f32 v135, v71, 0x3f2c7751, v133
	v_mul_f32_e32 v24, 0x3dbcf732, v87
	v_add_f32_e32 v17, v21, v17
	v_add_f32_e32 v16, v20, v16
	v_add_f32_e32 v134, v136, v134
	v_fmamk_f32 v26, v60, 0xbe8c1d8e, v124
	v_mul_f32_e32 v27, 0x3f2c7751, v75
	v_add_f32_e32 v135, v41, v135
	v_fmamk_f32 v22, v68, 0x3f7ee86f, v24
	;; [unrolled: 8-line block ×3, first 2 shown]
	v_add_f32_e32 v17, v17, v33
	v_add_f32_e32 v16, v16, v32
	v_mul_f32_e32 v32, 0xbf2c7751, v81
	v_add_f32_e32 v26, v134, v26
	v_add_f32_e32 v21, v135, v22
	v_fmamk_f32 v22, v58, 0x3f6eb680, v136
	v_add_f32_e32 v17, v17, v35
	v_add_f32_e32 v16, v16, v34
	v_fmamk_f32 v35, v66, 0x3f3d2fb0, v32
	v_mul_f32_e32 v135, 0xbf7ee86f, v79
	v_mul_f32_e32 v25, 0x3dbcf732, v86
	;; [unrolled: 1-line block ×3, first 2 shown]
	v_add_f32_e32 v17, v17, v29
	v_add_f32_e32 v16, v16, v28
	;; [unrolled: 1-line block ×4, first 2 shown]
	v_fmamk_f32 v28, v64, 0x3dbcf732, v135
	v_mul_f32_e32 v29, 0xbf4c4adb, v78
	v_fmamk_f32 v20, v70, 0x3f7ee86f, v25
	v_fmamk_f32 v18, v65, 0x3e3c28d5, v137
	v_mul_f32_e32 v19, 0xbf59a7d5, v82
	v_mul_f32_e32 v134, 0xbf7ee86f, v76
	v_add_f32_e32 v17, v17, v31
	v_add_f32_e32 v16, v16, v30
	;; [unrolled: 1-line block ×3, first 2 shown]
	v_fmamk_f32 v28, v62, 0xbf1a4643, v29
	v_mul_f32_e32 v31, 0xbe3c28d5, v77
	v_add_f32_e32 v18, v18, v21
	v_fmamk_f32 v21, v63, 0xbf06c442, v19
	v_mul_f32_e32 v33, 0xbe8c1d8e, v80
	v_mul_f32_e32 v34, 0xbf59a7d5, v89
	v_fmamk_f32 v30, v69, 0x3dbcf732, v134
	v_add_f32_e32 v20, v20, v132
	v_add_f32_e32 v26, v28, v26
	v_fmamk_f32 v28, v60, 0xbf7ba420, v31
	v_add_f32_e32 v12, v16, v12
	v_mul_f32_e32 v132, 0x3f06c442, v75
	v_fmac_f32_e32 v106, 0xbf763a35, v71
	v_add_f32_e32 v18, v21, v18
	v_fmamk_f32 v21, v61, 0xbf763a35, v33
	v_fmamk_f32 v35, v73, 0x3f06c442, v34
	v_add_f32_e32 v22, v30, v22
	v_mul_f32_e32 v30, 0xbf06c442, v84
	v_add_f32_e32 v13, v17, v13
	v_add_f32_e32 v16, v28, v26
	;; [unrolled: 1-line block ×3, first 2 shown]
	v_fmamk_f32 v12, v59, 0xbf59a7d5, v132
	v_mul_f32_e32 v139, 0x3f763a35, v74
	v_add_f32_e32 v106, v41, v106
	v_fmac_f32_e32 v102, 0x3f06c442, v68
	v_mul_f32_e32 v26, 0x3ee437d1, v86
	v_add_f32_e32 v28, v13, v15
	v_add_f32_e32 v14, v21, v18
	v_fmamk_f32 v17, v72, 0xbf59a7d5, v30
	v_add_f32_e32 v16, v12, v16
	v_fmamk_f32 v18, v58, 0xbe8c1d8e, v139
	v_mul_f32_e32 v21, 0x3f65296c, v76
	v_add_f32_e32 v13, v35, v20
	v_mul_f32_e32 v20, 0x3f6eb680, v88
	v_add_f32_e32 v102, v102, v106
	v_fmac_f32_e32 v104, 0x3f2c7751, v67
	v_fmamk_f32 v15, v70, 0xbf65296c, v26
	v_add_f32_e32 v12, v17, v22
	v_mul_f32_e32 v22, 0x3f6eb680, v89
	v_add_f32_e32 v16, v18, v16
	v_fmamk_f32 v17, v69, 0x3ee437d1, v21
	v_mul_f32_e32 v18, 0x3eb8f4ab, v84
	v_fmamk_f32 v35, v71, 0x3eb8f4ab, v20
	v_mul_f32_e32 v87, 0x3f3d2fb0, v87
	v_add_f32_e32 v9, v28, v9
	v_add_f32_e32 v28, v104, v102
	v_fmac_f32_e32 v105, 0xbf65296c, v65
	v_add_f32_e32 v14, v15, v14
	v_fmamk_f32 v15, v73, 0xbeb8f4ab, v22
	v_add_f32_e32 v16, v17, v16
	v_add_f32_e32 v17, v41, v35
	v_fmamk_f32 v35, v68, 0x3f2c7751, v87
	v_mul_f32_e32 v85, 0x3ee437d1, v85
	v_fmamk_f32 v88, v72, 0x3f6eb680, v18
	v_mul_f32_e32 v81, 0xbeb8f4ab, v81
	v_add_f32_e32 v9, v9, v11
	v_add_f32_e32 v8, v138, v8
	;; [unrolled: 1-line block ×3, first 2 shown]
	v_fmac_f32_e32 v115, 0xbe3c28d5, v63
	v_add_f32_e32 v15, v15, v14
	v_add_f32_e32 v17, v35, v17
	v_fmamk_f32 v35, v67, 0x3f65296c, v85
	v_mul_f32_e32 v83, 0x3dbcf732, v83
	v_add_f32_e32 v14, v88, v16
	v_fmamk_f32 v16, v66, 0x3f6eb680, v81
	v_mul_f32_e32 v79, 0xbf2c7751, v79
	v_add_f32_e32 v5, v9, v5
	v_add_f32_e32 v8, v8, v10
	;; [unrolled: 1-line block ×3, first 2 shown]
	v_fmac_f32_e32 v107, 0x3f7ee86f, v61
	v_fma_f32 v10, 0xbe8c1d8e, v66, -v101
	v_add_f32_e32 v17, v35, v17
	v_fmamk_f32 v35, v65, 0x3f7ee86f, v83
	v_mul_f32_e32 v82, 0xbe8c1d8e, v82
	v_add_f32_e32 v16, v40, v16
	v_fmamk_f32 v88, v64, 0x3f3d2fb0, v79
	v_mul_f32_e32 v78, 0xbf65296c, v78
	v_add_f32_e32 v5, v5, v7
	v_add_f32_e32 v4, v8, v4
	;; [unrolled: 1-line block ×3, first 2 shown]
	v_fmac_f32_e32 v95, 0xbeb8f4ab, v70
	v_add_f32_e32 v8, v40, v10
	v_fma_f32 v9, 0xbf59a7d5, v64, -v103
	v_fmac_f32_e32 v116, 0xbf7ee86f, v71
	v_add_f32_e32 v17, v35, v17
	v_fmamk_f32 v35, v63, 0x3f763a35, v82
	v_mul_f32_e32 v80, 0xbf1a4643, v80
	v_add_f32_e32 v16, v88, v16
	v_fmamk_f32 v88, v62, 0x3ee437d1, v78
	v_mul_f32_e32 v77, 0xbf7ee86f, v77
	v_add_f32_e32 v4, v4, v6
	v_add_f32_e32 v6, v95, v7
	v_fmac_f32_e32 v117, 0xbf4c4adb, v73
	v_add_f32_e32 v8, v9, v8
	v_fma_f32 v9, 0x3f3d2fb0, v62, -v94
	v_add_f32_e32 v10, v41, v116
	v_fmac_f32_e32 v96, 0xbe3c28d5, v68
	v_add_f32_e32 v17, v35, v17
	v_fmamk_f32 v35, v61, 0x3f4c4adb, v80
	v_mul_f32_e32 v86, 0xbf59a7d5, v86
	v_add_f32_e32 v16, v88, v16
	v_fmamk_f32 v88, v60, 0x3dbcf732, v77
	v_mul_f32_e32 v75, 0xbf763a35, v75
	v_add_f32_e32 v7, v117, v6
	v_fma_f32 v6, 0x3dbcf732, v66, -v119
	v_add_f32_e32 v8, v9, v8
	v_fma_f32 v9, 0x3ee437d1, v60, -v90
	v_add_f32_e32 v10, v96, v10
	v_fmac_f32_e32 v97, 0x3f763a35, v67
	v_add_f32_e32 v17, v35, v17
	v_fmamk_f32 v35, v70, 0x3f06c442, v86
	v_add_f32_e32 v16, v88, v16
	v_fmamk_f32 v88, v59, 0xbe8c1d8e, v75
	v_mul_f32_e32 v74, 0xbf4c4adb, v74
	v_mul_f32_e32 v89, 0xbf7ba420, v89
	v_add_f32_e32 v6, v40, v6
	v_fma_f32 v11, 0xbf7ba420, v64, -v121
	v_add_f32_e32 v8, v9, v8
	v_fma_f32 v9, 0xbf7ba420, v59, -v91
	v_add_f32_e32 v10, v97, v10
	v_fmac_f32_e32 v100, 0x3eb8f4ab, v65
	v_add_f32_e32 v16, v88, v16
	v_fmamk_f32 v88, v58, 0xbf1a4643, v74
	v_add_f32_e32 v17, v35, v17
	v_fmamk_f32 v35, v73, 0x3e3c28d5, v89
	v_mul_f32_e32 v76, 0xbf06c442, v76
	v_add_f32_e32 v6, v11, v6
	v_fma_f32 v11, 0xbe8c1d8e, v62, -v122
	v_add_f32_e32 v8, v9, v8
	v_fma_f32 v9, 0x3dbcf732, v58, -v92
	v_add_f32_e32 v10, v100, v10
	v_fmac_f32_e32 v113, 0xbf65296c, v63
	v_add_f32_e32 v16, v88, v16
	v_add_f32_e32 v17, v35, v17
	v_fmamk_f32 v35, v69, 0xbf59a7d5, v76
	v_mul_f32_e32 v84, 0xbe3c28d5, v84
	v_add_f32_e32 v6, v11, v6
	v_fma_f32 v11, 0x3f6eb680, v60, -v125
	v_add_f32_e32 v8, v9, v8
	v_fma_f32 v9, 0x3f6eb680, v69, -v93
	v_add_f32_e32 v10, v113, v10
	v_fmac_f32_e32 v114, 0xbf06c442, v61
	v_add_f32_e32 v16, v35, v16
	v_fmamk_f32 v28, v72, 0xbf7ba420, v84
	v_add_f32_e32 v6, v11, v6
	v_fma_f32 v11, 0x3ee437d1, v59, -v126
	v_add_f32_e32 v8, v9, v8
	v_fma_f32 v9, 0xbf1a4643, v72, -v108
	v_add_f32_e32 v10, v114, v10
	v_fmac_f32_e32 v109, 0x3f4c4adb, v70
	v_add_f32_e32 v16, v28, v16
	v_add_f32_e32 v11, v11, v6
	v_fma_f32 v28, 0xbf59a7d5, v58, -v129
	v_add_f32_e32 v6, v9, v8
	v_fmac_f32_e32 v118, 0xbf65296c, v71
	v_add_f32_e32 v8, v109, v10
	v_fmac_f32_e32 v120, 0x3f2c7751, v73
	v_add_f32_e32 v10, v28, v11
	v_fma_f32 v11, 0xbf1a4643, v69, -v127
	v_add_f32_e32 v28, v41, v118
	v_fmac_f32_e32 v110, 0xbf4c4adb, v68
	v_add_f32_e32 v9, v120, v8
	v_fma_f32 v8, 0x3ee437d1, v66, -v128
	v_add_f32_e32 v10, v11, v10
	v_fma_f32 v11, 0x3f3d2fb0, v72, -v131
	v_add_f32_e32 v28, v110, v28
	v_fmac_f32_e32 v98, 0x3e3c28d5, v67
	v_add_f32_e32 v35, v40, v8
	v_fma_f32 v88, 0xbf1a4643, v64, -v130
	v_add_f32_e32 v8, v11, v10
	v_fmac_f32_e32 v133, 0xbf2c7751, v71
	v_add_f32_e32 v10, v98, v28
	v_fmac_f32_e32 v99, 0x3f763a35, v65
	v_add_f32_e32 v11, v88, v35
	v_fma_f32 v28, 0xbf7ba420, v62, -v123
	v_add_f32_e32 v35, v41, v133
	v_fmac_f32_e32 v24, 0xbf7ee86f, v68
	;; [unrolled: 6-line block ×6, first 2 shown]
	v_add_f32_e32 v11, v34, v10
	v_fma_f32 v10, 0x3f3d2fb0, v66, -v32
	v_add_f32_e32 v23, v25, v24
	v_fma_f32 v24, 0xbf59a7d5, v72, -v30
	v_add_f32_e32 v19, v33, v19
	v_fmac_f32_e32 v26, 0x3f65296c, v70
	v_add_f32_e32 v25, v40, v10
	v_fma_f32 v27, 0x3dbcf732, v64, -v135
	v_add_f32_e32 v10, v24, v23
	v_fmac_f32_e32 v20, 0xbeb8f4ab, v71
	v_fma_f32 v23, 0x3f6eb680, v66, -v81
	v_add_f32_e32 v19, v26, v19
	v_add_f32_e32 v24, v27, v25
	v_fma_f32 v25, 0xbf1a4643, v62, -v29
	v_add_f32_e32 v20, v41, v20
	v_fmac_f32_e32 v87, 0xbf2c7751, v68
	v_add_f32_e32 v23, v40, v23
	v_fma_f32 v26, 0x3f3d2fb0, v64, -v79
	v_add_f32_e32 v24, v25, v24
	v_fma_f32 v25, 0xbf7ba420, v60, -v31
	v_add_f32_e32 v20, v87, v20
	v_fmac_f32_e32 v85, 0xbf65296c, v67
	v_add_f32_e32 v23, v26, v23
	v_fma_f32 v26, 0x3ee437d1, v62, -v78
	;; [unrolled: 6-line block ×5, first 2 shown]
	v_add_f32_e32 v21, v21, v24
	v_fmac_f32_e32 v86, 0xbf06c442, v70
	v_add_f32_e32 v20, v80, v20
	v_fma_f32 v24, 0xbf59a7d5, v69, -v76
	v_add_f32_e32 v23, v25, v23
	v_mul_u32_u24_e32 v25, 0x88, v36
	v_fmac_f32_e32 v22, 0x3eb8f4ab, v73
	v_fma_f32 v18, 0x3f6eb680, v72, -v18
	v_add_f32_e32 v20, v86, v20
	v_fmac_f32_e32 v89, 0xbe3c28d5, v73
	v_add_f32_e32 v23, v24, v23
	v_fma_f32 v24, 0xbf7ba420, v72, -v84
	v_add3_u32 v25, 0, v25, v56
	v_add_f32_e32 v19, v22, v19
	v_add_f32_e32 v18, v18, v21
	;; [unrolled: 1-line block ×4, first 2 shown]
	ds_write2_b64 v25, v[4:5], v[16:17] offset1:1
	ds_write2_b64 v25, v[14:15], v[12:13] offset0:2 offset1:3
	ds_write2_b64 v25, v[52:53], v[50:51] offset0:4 offset1:5
	;; [unrolled: 1-line block ×7, first 2 shown]
	ds_write_b64 v25, v[20:21] offset:128
.LBB0_18:
	s_or_b32 exec_lo, exec_lo, s1
	v_add_nc_u32_e32 v20, 0x400, v37
	s_waitcnt lgkmcnt(0)
	s_barrier
	buffer_gl0_inv
	ds_read2_b64 v[4:7], v37 offset0:68 offset1:170
	ds_read2_b64 v[8:11], v20 offset0:110 offset1:212
	;; [unrolled: 1-line block ×3, first 2 shown]
	ds_read_b64 v[16:17], v55
	ds_read_b64 v[18:19], v37 offset:4624
	v_cmp_gt_u32_e64 s0, 34, v36
	s_and_saveexec_b32 s1, s0
	s_cbranch_execz .LBB0_20
; %bb.19:
	v_add_nc_u32_e32 v21, 0xc00, v37
	ds_read2_b64 v[0:3], v20 offset0:8 offset1:178
	ds_read2_b32 v[42:43], v21 offset0:184 offset1:185
	ds_read_b64 v[44:45], v37 offset:5168
.LBB0_20:
	s_or_b32 exec_lo, exec_lo, s1
	v_and_b32_e32 v20, 0xff, v36
	v_add_nc_u16 v21, v36, 0x44
	v_mul_lo_u16 v20, 0xf1, v20
	v_lshrrev_b16 v33, 12, v20
	v_and_b32_e32 v20, 0xff, v21
	v_mul_lo_u16 v22, v33, 17
	v_mul_lo_u16 v23, 0xf1, v20
	v_mov_b32_e32 v20, 3
	v_and_b32_e32 v33, 0xffff, v33
	v_sub_nc_u16 v34, v36, v22
	v_lshrrev_b16 v35, 12, v23
	v_mad_u32_u24 v33, 0x220, v33, 0
	v_mul_u32_u24_sdwa v22, v34, v20 dst_sel:DWORD dst_unused:UNUSED_PAD src0_sel:BYTE_0 src1_sel:DWORD
	v_mul_lo_u16 v23, v35, 17
	v_and_b32_e32 v35, 0xffff, v35
	v_lshlrev_b32_sdwa v34, v20, v34 dst_sel:DWORD dst_unused:UNUSED_PAD src0_sel:DWORD src1_sel:BYTE_0
	v_lshlrev_b32_e32 v25, 3, v22
	v_sub_nc_u16 v40, v21, v23
	v_mad_u32_u24 v35, 0x220, v35, 0
	v_add3_u32 v33, v33, v34, v56
	s_clause 0x1
	global_load_dwordx4 v[21:24], v25, s[8:9]
	global_load_dwordx2 v[29:30], v25, s[8:9] offset:16
	v_mul_u32_u24_sdwa v26, v40, v20 dst_sel:DWORD dst_unused:UNUSED_PAD src0_sel:BYTE_0 src1_sel:DWORD
	v_lshlrev_b32_sdwa v40, v20, v40 dst_sel:DWORD dst_unused:UNUSED_PAD src0_sel:DWORD src1_sel:BYTE_0
	v_lshlrev_b32_e32 v31, 3, v26
	v_add3_u32 v34, v35, v40, v56
	s_clause 0x1
	global_load_dwordx4 v[25:28], v31, s[8:9]
	global_load_dwordx2 v[31:32], v31, s[8:9] offset:16
	s_waitcnt vmcnt(0) lgkmcnt(0)
	s_barrier
	buffer_gl0_inv
	v_mul_f32_e32 v35, v22, v7
	v_mul_f32_e32 v22, v22, v6
	v_mul_f32_e32 v40, v24, v11
	v_mul_f32_e32 v24, v24, v10
	v_mul_f32_e32 v41, v30, v15
	v_mul_f32_e32 v30, v30, v14
	v_fmac_f32_e32 v35, v21, v6
	v_fma_f32 v6, v21, v7, -v22
	v_fmac_f32_e32 v40, v23, v10
	v_fma_f32 v7, v23, v11, -v24
	;; [unrolled: 2-line block ×3, first 2 shown]
	v_mul_f32_e32 v14, v26, v9
	v_mul_f32_e32 v11, v26, v8
	;; [unrolled: 1-line block ×6, first 2 shown]
	v_fmac_f32_e32 v14, v25, v8
	v_fma_f32 v24, v25, v9, -v11
	v_fmac_f32_e32 v15, v27, v12
	v_fma_f32 v8, v27, v13, -v21
	v_fmac_f32_e32 v22, v31, v18
	v_sub_f32_e32 v11, v16, v40
	v_sub_f32_e32 v12, v17, v7
	;; [unrolled: 1-line block ×4, first 2 shown]
	v_fma_f32 v10, v31, v19, -v23
	v_fma_f32 v13, v16, 2.0, -v11
	v_fma_f32 v16, v17, 2.0, -v12
	;; [unrolled: 1-line block ×4, first 2 shown]
	v_sub_f32_e32 v19, v4, v15
	v_sub_f32_e32 v21, v5, v8
	v_sub_f32_e32 v15, v14, v22
	v_sub_f32_e32 v22, v24, v10
	v_add_f32_e32 v6, v11, v9
	v_sub_f32_e32 v8, v13, v17
	v_sub_f32_e32 v9, v16, v18
	v_fma_f32 v18, v4, 2.0, -v19
	v_fma_f32 v23, v5, 2.0, -v21
	;; [unrolled: 1-line block ×4, first 2 shown]
	v_sub_f32_e32 v7, v12, v7
	v_add_f32_e32 v4, v19, v22
	v_sub_f32_e32 v5, v21, v15
	v_sub_f32_e32 v14, v18, v14
	;; [unrolled: 1-line block ×3, first 2 shown]
	v_fma_f32 v10, v11, 2.0, -v6
	v_fma_f32 v11, v12, 2.0, -v7
	;; [unrolled: 1-line block ×8, first 2 shown]
	ds_write2_b64 v33, v[8:9], v[6:7] offset0:34 offset1:51
	ds_write2_b64 v33, v[12:13], v[10:11] offset1:17
	ds_write2_b64 v34, v[18:19], v[16:17] offset1:17
	ds_write2_b64 v34, v[14:15], v[4:5] offset0:34 offset1:51
	s_and_saveexec_b32 s1, s0
	s_cbranch_execz .LBB0_22
; %bb.21:
	v_add_nc_u16 v4, v36, 0x88
	v_and_b32_e32 v5, 0xff, v4
	v_mul_lo_u16 v5, 0xf1, v5
	v_lshrrev_b16 v10, 12, v5
	v_mul_lo_u16 v5, v10, 17
	v_sub_nc_u16 v11, v4, v5
	v_mul_u32_u24_sdwa v4, v11, v20 dst_sel:DWORD dst_unused:UNUSED_PAD src0_sel:BYTE_0 src1_sel:DWORD
	v_lshlrev_b32_sdwa v11, v20, v11 dst_sel:DWORD dst_unused:UNUSED_PAD src0_sel:DWORD src1_sel:BYTE_0
	v_lshlrev_b32_e32 v8, 3, v4
	s_clause 0x1
	global_load_dwordx4 v[4:7], v8, s[8:9]
	global_load_dwordx2 v[8:9], v8, s[8:9] offset:16
	s_waitcnt vmcnt(1)
	v_mul_f32_e32 v12, v42, v7
	v_mul_f32_e32 v13, v3, v5
	s_waitcnt vmcnt(0)
	v_mul_f32_e32 v14, v45, v9
	v_mul_f32_e32 v5, v2, v5
	;; [unrolled: 1-line block ×4, first 2 shown]
	v_fma_f32 v12, v43, v6, -v12
	v_fmac_f32_e32 v13, v2, v4
	v_fma_f32 v2, v3, v4, -v5
	v_fma_f32 v3, v45, v8, -v9
	v_fmac_f32_e32 v7, v42, v6
	v_fmac_f32_e32 v14, v44, v8
	v_sub_f32_e32 v5, v1, v12
	v_and_b32_e32 v4, 0xffff, v10
	v_sub_f32_e32 v3, v2, v3
	v_sub_f32_e32 v6, v0, v7
	;; [unrolled: 1-line block ×3, first 2 shown]
	v_fma_f32 v8, v1, 2.0, -v5
	v_mad_u32_u24 v4, 0x220, v4, 0
	v_fma_f32 v2, v2, 2.0, -v3
	v_fma_f32 v9, v0, 2.0, -v6
	;; [unrolled: 1-line block ×3, first 2 shown]
	v_sub_f32_e32 v1, v5, v7
	v_add_f32_e32 v0, v6, v3
	v_sub_f32_e32 v3, v8, v2
	v_sub_f32_e32 v2, v9, v10
	v_add3_u32 v10, v4, v11, v56
	v_fma_f32 v5, v5, 2.0, -v1
	v_fma_f32 v4, v6, 2.0, -v0
	;; [unrolled: 1-line block ×4, first 2 shown]
	ds_write2_b64 v10, v[6:7], v[4:5] offset1:17
	ds_write2_b64 v10, v[2:3], v[0:1] offset0:34 offset1:51
.LBB0_22:
	s_or_b32 exec_lo, exec_lo, s1
	v_mul_u32_u24_e32 v0, 9, v36
	s_waitcnt lgkmcnt(0)
	s_barrier
	buffer_gl0_inv
	v_add_nc_u32_e32 v20, 0x400, v37
	v_lshlrev_b32_e32 v16, 3, v0
	v_add_nc_u32_e32 v42, 0x800, v37
	v_add_nc_u32_e32 v28, 0xc00, v37
	;; [unrolled: 1-line block ×3, first 2 shown]
	s_clause 0x4
	global_load_dwordx4 v[0:3], v16, s[8:9] offset:408
	global_load_dwordx4 v[4:7], v16, s[8:9] offset:424
	;; [unrolled: 1-line block ×4, first 2 shown]
	global_load_dwordx2 v[32:33], v16, s[8:9] offset:472
	ds_read2_b64 v[16:19], v37 offset0:68 offset1:136
	ds_read2_b64 v[20:23], v20 offset0:76 offset1:144
	;; [unrolled: 1-line block ×4, first 2 shown]
	ds_read_b64 v[34:35], v55
	ds_read_b64 v[40:41], v37 offset:4896
	s_waitcnt vmcnt(0) lgkmcnt(0)
	s_barrier
	buffer_gl0_inv
	v_mul_f32_e32 v44, v1, v17
	v_mul_f32_e32 v1, v1, v16
	;; [unrolled: 1-line block ×18, first 2 shown]
	v_fmac_f32_e32 v44, v0, v16
	v_fma_f32 v16, v0, v17, -v1
	v_fmac_f32_e32 v45, v2, v18
	v_fma_f32 v0, v2, v19, -v3
	;; [unrolled: 2-line block ×4, first 2 shown]
	v_fma_f32 v3, v8, v25, -v9
	v_fmac_f32_e32 v49, v26, v10
	v_fma_f32 v4, v27, v10, -v11
	v_fma_f32 v5, v29, v12, -v13
	v_fmac_f32_e32 v51, v30, v14
	v_fma_f32 v6, v31, v14, -v15
	v_fma_f32 v7, v41, v32, -v33
	v_fmac_f32_e32 v48, v8, v24
	v_fmac_f32_e32 v50, v28, v12
	;; [unrolled: 1-line block ×3, first 2 shown]
	v_add_f32_e32 v8, v34, v45
	v_add_f32_e32 v9, v47, v49
	v_sub_f32_e32 v12, v45, v47
	v_sub_f32_e32 v13, v51, v49
	v_add_f32_e32 v14, v45, v51
	v_sub_f32_e32 v15, v47, v45
	v_sub_f32_e32 v20, v45, v51
	;; [unrolled: 1-line block ×4, first 2 shown]
	v_add_f32_e32 v41, v16, v1
	v_add_f32_e32 v45, v3, v5
	;; [unrolled: 1-line block ×3, first 2 shown]
	v_sub_f32_e32 v17, v49, v51
	v_add_f32_e32 v18, v35, v0
	v_sub_f32_e32 v21, v47, v49
	v_add_f32_e32 v26, v44, v46
	v_add_f32_e32 v27, v48, v50
	v_sub_f32_e32 v28, v1, v7
	v_sub_f32_e32 v29, v3, v5
	;; [unrolled: 1-line block ×3, first 2 shown]
	v_add_f32_e32 v32, v46, v52
	v_sub_f32_e32 v33, v48, v46
	v_sub_f32_e32 v46, v46, v52
	;; [unrolled: 1-line block ×4, first 2 shown]
	v_add_f32_e32 v8, v8, v47
	v_fma_f32 v47, -0.5, v9, v34
	v_add_f32_e32 v9, v12, v13
	v_fma_f32 v13, -0.5, v14, v34
	v_add_f32_e32 v14, v22, v23
	v_add_f32_e32 v3, v41, v3
	v_fma_f32 v23, -0.5, v45, v16
	v_add_f32_e32 v19, v2, v4
	v_sub_f32_e32 v53, v48, v50
	v_fmac_f32_e32 v16, -0.5, v57
	v_sub_f32_e32 v10, v0, v6
	v_sub_f32_e32 v11, v2, v4
	v_add_f32_e32 v24, v0, v6
	v_sub_f32_e32 v0, v2, v0
	v_sub_f32_e32 v56, v7, v5
	;; [unrolled: 1-line block ×3, first 2 shown]
	v_add_f32_e32 v12, v15, v17
	v_add_f32_e32 v2, v18, v2
	;; [unrolled: 1-line block ×3, first 2 shown]
	v_fma_f32 v17, -0.5, v27, v44
	v_add_f32_e32 v3, v3, v5
	v_fmamk_f32 v5, v46, 0x3f737871, v23
	v_sub_f32_e32 v31, v52, v50
	v_fma_f32 v19, -0.5, v19, v35
	v_fmac_f32_e32 v44, -0.5, v32
	v_fmamk_f32 v32, v53, 0xbf737871, v16
	v_fmac_f32_e32 v16, 0x3f737871, v53
	v_fmac_f32_e32 v23, 0xbf737871, v46
	v_sub_f32_e32 v25, v4, v6
	v_fmac_f32_e32 v35, -0.5, v24
	v_add_f32_e32 v24, v55, v56
	v_fmamk_f32 v26, v11, 0x3f737871, v13
	v_fmac_f32_e32 v13, 0xbf737871, v11
	v_add_f32_e32 v2, v2, v4
	v_add_f32_e32 v4, v15, v50
	v_fmamk_f32 v15, v28, 0xbf737871, v17
	v_fmac_f32_e32 v5, 0x3f167918, v53
	v_sub_f32_e32 v40, v50, v52
	v_add_f32_e32 v18, v30, v31
	v_add_f32_e32 v1, v1, v58
	v_fmamk_f32 v27, v20, 0x3f737871, v19
	v_fmac_f32_e32 v19, 0xbf737871, v20
	v_fmac_f32_e32 v17, 0x3f737871, v28
	v_fmamk_f32 v31, v29, 0x3f737871, v44
	v_fmac_f32_e32 v44, 0xbf737871, v29
	v_fmac_f32_e32 v32, 0x3f167918, v46
	;; [unrolled: 1-line block ×4, first 2 shown]
	v_add_f32_e32 v0, v0, v25
	v_fmamk_f32 v25, v10, 0xbf737871, v47
	v_fmac_f32_e32 v26, 0xbf167918, v10
	v_fmac_f32_e32 v13, 0x3f167918, v10
	;; [unrolled: 1-line block ×4, first 2 shown]
	v_add_f32_e32 v22, v33, v40
	v_fmamk_f32 v30, v21, 0xbf737871, v35
	v_fmac_f32_e32 v35, 0x3f737871, v21
	v_fmac_f32_e32 v27, 0x3f167918, v21
	;; [unrolled: 1-line block ×10, first 2 shown]
	v_add_f32_e32 v8, v8, v49
	v_fmac_f32_e32 v25, 0xbf167918, v11
	v_fmac_f32_e32 v26, 0x3e9e377a, v12
	;; [unrolled: 1-line block ×4, first 2 shown]
	v_mul_f32_e32 v12, 0xbf167918, v5
	v_mul_f32_e32 v21, 0x3f4f1bbd, v5
	v_fmac_f32_e32 v30, 0x3f167918, v20
	v_fmac_f32_e32 v35, 0xbf167918, v20
	;; [unrolled: 1-line block ×7, first 2 shown]
	v_mul_f32_e32 v14, 0xbf737871, v32
	v_mul_f32_e32 v18, 0xbf737871, v16
	;; [unrolled: 1-line block ×4, first 2 shown]
	v_fmac_f32_e32 v47, 0x3f167918, v11
	v_mul_f32_e32 v20, 0xbf167918, v23
	v_mul_f32_e32 v23, 0xbf4f1bbd, v23
	v_add_f32_e32 v8, v8, v51
	v_add_f32_e32 v6, v2, v6
	;; [unrolled: 1-line block ×4, first 2 shown]
	v_fmac_f32_e32 v25, 0x3e9e377a, v9
	v_fmac_f32_e32 v12, 0x3f4f1bbd, v15
	;; [unrolled: 1-line block ×12, first 2 shown]
	v_add_f32_e32 v0, v8, v2
	v_add_f32_e32 v1, v6, v3
	;; [unrolled: 1-line block ×4, first 2 shown]
	v_sub_f32_e32 v2, v8, v2
	v_sub_f32_e32 v3, v6, v3
	v_add_f32_e32 v6, v26, v14
	v_add_f32_e32 v8, v13, v18
	;; [unrolled: 1-line block ×6, first 2 shown]
	v_sub_f32_e32 v12, v25, v12
	v_sub_f32_e32 v14, v26, v14
	;; [unrolled: 1-line block ×8, first 2 shown]
	ds_write2_b64 v37, v[0:1], v[4:5] offset1:68
	ds_write2_b64 v37, v[6:7], v[8:9] offset0:136 offset1:204
	ds_write2_b64 v42, v[10:11], v[2:3] offset0:16 offset1:84
	;; [unrolled: 1-line block ×4, first 2 shown]
	s_waitcnt lgkmcnt(0)
	s_barrier
	buffer_gl0_inv
	s_and_saveexec_b32 s0, vcc_lo
	s_cbranch_execz .LBB0_24
; %bb.23:
	v_lshl_add_u32 v20, v36, 3, v54
	v_mov_b32_e32 v37, 0
	v_add_nc_u32_e32 v8, 0x44, v36
	v_add_co_u32 v21, vcc_lo, s2, v38
	ds_read2_b64 v[0:3], v20 offset1:68
	v_lshlrev_b64 v[14:15], 3, v[36:37]
	v_mov_b32_e32 v9, v37
	v_add_co_ci_u32_e32 v22, vcc_lo, s3, v39, vcc_lo
	v_add_nc_u32_e32 v10, 0x88, v36
	v_mov_b32_e32 v11, v37
	v_lshlrev_b64 v[8:9], 3, v[8:9]
	v_add_co_u32 v14, vcc_lo, v21, v14
	v_add_nc_u32_e32 v23, 0x800, v20
	v_add_co_ci_u32_e32 v15, vcc_lo, v22, v15, vcc_lo
	ds_read2_b64 v[4:7], v20 offset0:136 offset1:204
	v_add_co_u32 v16, vcc_lo, v21, v8
	v_add_nc_u32_e32 v12, 0xcc, v36
	v_mov_b32_e32 v13, v37
	v_add_co_ci_u32_e32 v17, vcc_lo, v22, v9, vcc_lo
	s_waitcnt lgkmcnt(1)
	global_store_dwordx2 v[14:15], v[0:1], off
	v_lshlrev_b64 v[0:1], 3, v[10:11]
	ds_read2_b64 v[8:11], v23 offset0:16 offset1:84
	v_add_nc_u32_e32 v14, 0x110, v36
	v_mov_b32_e32 v15, v37
	v_lshlrev_b64 v[12:13], 3, v[12:13]
	v_add_nc_u32_e32 v18, 0x154, v36
	v_add_co_u32 v0, vcc_lo, v21, v0
	v_lshlrev_b64 v[14:15], 3, v[14:15]
	v_add_co_ci_u32_e32 v1, vcc_lo, v22, v1, vcc_lo
	v_add_co_u32 v12, vcc_lo, v21, v12
	v_add_co_ci_u32_e32 v13, vcc_lo, v22, v13, vcc_lo
	v_mov_b32_e32 v19, v37
	v_add_co_u32 v14, vcc_lo, v21, v14
	v_add_co_ci_u32_e32 v15, vcc_lo, v22, v15, vcc_lo
	global_store_dwordx2 v[16:17], v[2:3], off
	s_waitcnt lgkmcnt(1)
	global_store_dwordx2 v[0:1], v[4:5], off
	global_store_dwordx2 v[12:13], v[6:7], off
	s_waitcnt lgkmcnt(0)
	global_store_dwordx2 v[14:15], v[8:9], off
	v_lshlrev_b64 v[0:1], 3, v[18:19]
	v_add_nc_u32_e32 v4, 0x198, v36
	v_mov_b32_e32 v5, v37
	v_add_nc_u32_e32 v6, 0x1dc, v36
	v_mov_b32_e32 v7, v37
	v_add_nc_u32_e32 v18, 0x1000, v20
	v_add_co_u32 v8, vcc_lo, v21, v0
	v_add_co_ci_u32_e32 v9, vcc_lo, v22, v1, vcc_lo
	ds_read2_b64 v[0:3], v23 offset0:152 offset1:220
	v_lshlrev_b64 v[12:13], 3, v[4:5]
	v_lshlrev_b64 v[14:15], 3, v[6:7]
	v_add_nc_u32_e32 v16, 0x220, v36
	v_mov_b32_e32 v17, v37
	ds_read2_b64 v[4:7], v18 offset0:32 offset1:100
	v_add_nc_u32_e32 v36, 0x264, v36
	v_add_co_u32 v12, vcc_lo, v21, v12
	v_lshlrev_b64 v[16:17], 3, v[16:17]
	v_add_co_ci_u32_e32 v13, vcc_lo, v22, v13, vcc_lo
	v_add_co_u32 v14, vcc_lo, v21, v14
	v_lshlrev_b64 v[18:19], 3, v[36:37]
	v_add_co_ci_u32_e32 v15, vcc_lo, v22, v15, vcc_lo
	v_add_co_u32 v16, vcc_lo, v21, v16
	v_add_co_ci_u32_e32 v17, vcc_lo, v22, v17, vcc_lo
	v_add_co_u32 v18, vcc_lo, v21, v18
	v_add_co_ci_u32_e32 v19, vcc_lo, v22, v19, vcc_lo
	global_store_dwordx2 v[8:9], v[10:11], off
	s_waitcnt lgkmcnt(1)
	global_store_dwordx2 v[12:13], v[0:1], off
	global_store_dwordx2 v[14:15], v[2:3], off
	s_waitcnt lgkmcnt(0)
	global_store_dwordx2 v[16:17], v[4:5], off
	global_store_dwordx2 v[18:19], v[6:7], off
.LBB0_24:
	s_endpgm
	.section	.rodata,"a",@progbits
	.p2align	6, 0x0
	.amdhsa_kernel fft_rtc_back_len680_factors_17_4_10_wgs_204_tpt_68_halfLds_sp_ip_CI_unitstride_sbrr_C2R_dirReg
		.amdhsa_group_segment_fixed_size 0
		.amdhsa_private_segment_fixed_size 0
		.amdhsa_kernarg_size 88
		.amdhsa_user_sgpr_count 6
		.amdhsa_user_sgpr_private_segment_buffer 1
		.amdhsa_user_sgpr_dispatch_ptr 0
		.amdhsa_user_sgpr_queue_ptr 0
		.amdhsa_user_sgpr_kernarg_segment_ptr 1
		.amdhsa_user_sgpr_dispatch_id 0
		.amdhsa_user_sgpr_flat_scratch_init 0
		.amdhsa_user_sgpr_private_segment_size 0
		.amdhsa_wavefront_size32 1
		.amdhsa_uses_dynamic_stack 0
		.amdhsa_system_sgpr_private_segment_wavefront_offset 0
		.amdhsa_system_sgpr_workgroup_id_x 1
		.amdhsa_system_sgpr_workgroup_id_y 0
		.amdhsa_system_sgpr_workgroup_id_z 0
		.amdhsa_system_sgpr_workgroup_info 0
		.amdhsa_system_vgpr_workitem_id 0
		.amdhsa_next_free_vgpr 142
		.amdhsa_next_free_sgpr 21
		.amdhsa_reserve_vcc 1
		.amdhsa_reserve_flat_scratch 0
		.amdhsa_float_round_mode_32 0
		.amdhsa_float_round_mode_16_64 0
		.amdhsa_float_denorm_mode_32 3
		.amdhsa_float_denorm_mode_16_64 3
		.amdhsa_dx10_clamp 1
		.amdhsa_ieee_mode 1
		.amdhsa_fp16_overflow 0
		.amdhsa_workgroup_processor_mode 1
		.amdhsa_memory_ordered 1
		.amdhsa_forward_progress 0
		.amdhsa_shared_vgpr_count 0
		.amdhsa_exception_fp_ieee_invalid_op 0
		.amdhsa_exception_fp_denorm_src 0
		.amdhsa_exception_fp_ieee_div_zero 0
		.amdhsa_exception_fp_ieee_overflow 0
		.amdhsa_exception_fp_ieee_underflow 0
		.amdhsa_exception_fp_ieee_inexact 0
		.amdhsa_exception_int_div_zero 0
	.end_amdhsa_kernel
	.text
.Lfunc_end0:
	.size	fft_rtc_back_len680_factors_17_4_10_wgs_204_tpt_68_halfLds_sp_ip_CI_unitstride_sbrr_C2R_dirReg, .Lfunc_end0-fft_rtc_back_len680_factors_17_4_10_wgs_204_tpt_68_halfLds_sp_ip_CI_unitstride_sbrr_C2R_dirReg
                                        ; -- End function
	.section	.AMDGPU.csdata,"",@progbits
; Kernel info:
; codeLenInByte = 10112
; NumSgprs: 23
; NumVgprs: 142
; ScratchSize: 0
; MemoryBound: 0
; FloatMode: 240
; IeeeMode: 1
; LDSByteSize: 0 bytes/workgroup (compile time only)
; SGPRBlocks: 2
; VGPRBlocks: 17
; NumSGPRsForWavesPerEU: 23
; NumVGPRsForWavesPerEU: 142
; Occupancy: 7
; WaveLimiterHint : 1
; COMPUTE_PGM_RSRC2:SCRATCH_EN: 0
; COMPUTE_PGM_RSRC2:USER_SGPR: 6
; COMPUTE_PGM_RSRC2:TRAP_HANDLER: 0
; COMPUTE_PGM_RSRC2:TGID_X_EN: 1
; COMPUTE_PGM_RSRC2:TGID_Y_EN: 0
; COMPUTE_PGM_RSRC2:TGID_Z_EN: 0
; COMPUTE_PGM_RSRC2:TIDIG_COMP_CNT: 0
	.text
	.p2alignl 6, 3214868480
	.fill 48, 4, 3214868480
	.type	__hip_cuid_33389ea435c09a99,@object ; @__hip_cuid_33389ea435c09a99
	.section	.bss,"aw",@nobits
	.globl	__hip_cuid_33389ea435c09a99
__hip_cuid_33389ea435c09a99:
	.byte	0                               ; 0x0
	.size	__hip_cuid_33389ea435c09a99, 1

	.ident	"AMD clang version 19.0.0git (https://github.com/RadeonOpenCompute/llvm-project roc-6.4.0 25133 c7fe45cf4b819c5991fe208aaa96edf142730f1d)"
	.section	".note.GNU-stack","",@progbits
	.addrsig
	.addrsig_sym __hip_cuid_33389ea435c09a99
	.amdgpu_metadata
---
amdhsa.kernels:
  - .args:
      - .actual_access:  read_only
        .address_space:  global
        .offset:         0
        .size:           8
        .value_kind:     global_buffer
      - .offset:         8
        .size:           8
        .value_kind:     by_value
      - .actual_access:  read_only
        .address_space:  global
        .offset:         16
        .size:           8
        .value_kind:     global_buffer
      - .actual_access:  read_only
        .address_space:  global
        .offset:         24
        .size:           8
        .value_kind:     global_buffer
      - .offset:         32
        .size:           8
        .value_kind:     by_value
      - .actual_access:  read_only
        .address_space:  global
        .offset:         40
        .size:           8
        .value_kind:     global_buffer
      - .actual_access:  read_only
        .address_space:  global
        .offset:         48
        .size:           8
        .value_kind:     global_buffer
      - .offset:         56
        .size:           4
        .value_kind:     by_value
      - .actual_access:  read_only
        .address_space:  global
        .offset:         64
        .size:           8
        .value_kind:     global_buffer
      - .actual_access:  read_only
        .address_space:  global
        .offset:         72
        .size:           8
        .value_kind:     global_buffer
      - .address_space:  global
        .offset:         80
        .size:           8
        .value_kind:     global_buffer
    .group_segment_fixed_size: 0
    .kernarg_segment_align: 8
    .kernarg_segment_size: 88
    .language:       OpenCL C
    .language_version:
      - 2
      - 0
    .max_flat_workgroup_size: 204
    .name:           fft_rtc_back_len680_factors_17_4_10_wgs_204_tpt_68_halfLds_sp_ip_CI_unitstride_sbrr_C2R_dirReg
    .private_segment_fixed_size: 0
    .sgpr_count:     23
    .sgpr_spill_count: 0
    .symbol:         fft_rtc_back_len680_factors_17_4_10_wgs_204_tpt_68_halfLds_sp_ip_CI_unitstride_sbrr_C2R_dirReg.kd
    .uniform_work_group_size: 1
    .uses_dynamic_stack: false
    .vgpr_count:     142
    .vgpr_spill_count: 0
    .wavefront_size: 32
    .workgroup_processor_mode: 1
amdhsa.target:   amdgcn-amd-amdhsa--gfx1030
amdhsa.version:
  - 1
  - 2
...

	.end_amdgpu_metadata
